;; amdgpu-corpus repo=FlagOpen/FlagGems kind=triton arch=gfx950 opt=O3 lang=triton
	.amdgcn_target "amdgcn-amd-amdhsa--gfx950"
	.amdhsa_code_object_version 5
	.text
	.globl	softmax_kernel_inner            ; -- Begin function softmax_kernel_inner
	.p2align	8
	.type	softmax_kernel_inner,@function
softmax_kernel_inner:                   ; @softmax_kernel_inner
.Lfunc_begin0:
	.cfi_sections .debug_frame
	.cfi_startproc
; %bb.48:
	.file	1 "/root/src/amdgpu-assembly/repos/FlagOpen__FlagGems/triton_aot_kernels" "softmax_aot.py"
	.loc	1 13 0 prologue_end             ; softmax_aot.py:13:0
	s_load_dwordx2 s[2:3], s[0:1], 0x0
	s_load_dwordx8 s[4:11], s[0:1], 0x8
	s_waitcnt lgkmcnt(0)
	s_branch .LBB0_0
	.loc	1 0 0 is_stmt 0                 ; :0:0
.Ltmp0:
	.p2align	8
; %bb.49:
.LBB0_0:
.Ltmp1:
	.file	2 "/root/.local/lib/python3.13/site-packages/triton/language" "standard.py"
	.loc	2 43 17 is_stmt 1               ; standard.py:43:17 @[ softmax_aot.py:10:22 @[ softmax_aot.py:42:48 ] ]
	s_add_i32 s0, s7, 0x7ff
	.loc	2 43 30 is_stmt 0               ; standard.py:43:30 @[ softmax_aot.py:10:22 @[ softmax_aot.py:42:48 ] ]
	s_ashr_i32 s1, s0, 31
	s_lshr_b32 s1, s1, 21
	s_add_i32 s0, s0, s1
.Ltmp2:
	.loc	2 293 36 is_stmt 1              ; standard.py:293:36 @[ softmax_aot.py:62:46 ]
	v_readfirstlane_b32 s21, v0
.Ltmp3:
	.loc	1 39 29                         ; softmax_aot.py:39:29
	s_mul_i32 s22, s7, s12
.Ltmp4:
	.loc	1 10 27                         ; softmax_aot.py:10:27 @[ softmax_aot.py:42:48 ]
	s_and_b32 s6, s0, 0xfffff800
.Ltmp5:
	.loc	1 39 21                         ; softmax_aot.py:39:21
	s_ashr_i32 s23, s22, 31
.Ltmp6:
	.loc	1 10 31                         ; softmax_aot.py:10:31 @[ softmax_aot.py:42:48 ]
	s_add_i32 s20, s6, 0xfffff800
.Ltmp7:
	.loc	1 44 47                         ; softmax_aot.py:44:47
	s_and_b32 s26, s21, 0x1c0
	v_and_b32_e32 v12, 63, v0
	.loc	1 43 51                         ; softmax_aot.py:43:51
	s_cmp_lt_i32 s20, 1
	s_mov_b32 s27, 0
	s_cbranch_scc1 .LBB0_3
; %bb.1:                                ; %.lr.ph.preheader
	s_lshl_b64 s[0:1], s[22:23], 1
	s_add_u32 s0, s4, s0
	v_add_lshl_u32 v2, s26, v12, 1
	v_mov_b32_e32 v3, 0
	s_addc_u32 s1, s5, s1
	v_lshl_add_u64 v[2:3], s[0:1], 0, v[2:3]
	s_mov_b64 s[0:1], 0xc00
	v_lshl_add_u64 v[2:3], v[2:3], 0, s[0:1]
	v_mov_b32_e32 v10, 0xff800000
	.loc	1 44 34                         ; softmax_aot.py:44:34
	v_mov_b32_e32 v4, 0
	v_mov_b32_e32 v5, 0
	;; [unrolled: 1-line block ×4, first 2 shown]
	s_mov_b32 s28, 0xc2fc0000
	v_mov_b32_e32 v8, 0x42800000
	v_not_b32_e32 v9, 63
	s_mov_b32 s29, 0xff800000
	s_mov_b64 s[24:25], 0x1000
	v_mov_b32_e32 v11, 0xff800000
	v_mov_b32_e32 v16, 0xff800000
	;; [unrolled: 1-line block ×3, first 2 shown]
.LBB0_2:                                ; %.lr.ph
                                        ; =>This Inner Loop Header: Depth=1
	.loc	1 45 26                         ; softmax_aot.py:45:26
	global_load_ushort v1, v[2:3], off offset:-3072
	global_load_ushort v13, v[2:3], off offset:-2048
	;; [unrolled: 1-line block ×3, first 2 shown]
	global_load_ushort v15, v[2:3], off
	.loc	1 46 34                         ; softmax_aot.py:46:34
	v_max_f32_e32 v18, v10, v10
	v_max_f32_e32 v19, v11, v11
	;; [unrolled: 1-line block ×4, first 2 shown]
	.loc	1 43 51                         ; softmax_aot.py:43:51
	s_addk_i32 s27, 0x800
	v_lshl_add_u64 v[2:3], v[2:3], 0, s[24:25]
	s_cmp_ge_i32 s27, s20
	.loc	1 46 34                         ; softmax_aot.py:46:34
	s_waitcnt vmcnt(3)
	v_cvt_f32_f16_e32 v22, v1
	s_waitcnt vmcnt(2)
	v_cvt_f32_f16_e32 v23, v13
	;; [unrolled: 2-line block ×4, first 2 shown]
	v_max_f32_e32 v15, v18, v22
	v_max_f32_e32 v14, v19, v23
	;; [unrolled: 1-line block ×4, first 2 shown]
	.loc	1 49 56                         ; softmax_aot.py:49:56
	v_sub_f32_e32 v18, v10, v15
	v_sub_f32_e32 v19, v11, v14
	;; [unrolled: 1-line block ×4, first 2 shown]
	.loc	1 49 78 is_stmt 0               ; softmax_aot.py:49:78
	v_sub_f32_e32 v22, v22, v15
	v_sub_f32_e32 v23, v23, v14
	;; [unrolled: 1-line block ×4, first 2 shown]
	.loc	1 49 52                         ; softmax_aot.py:49:52
	v_mul_f32_e32 v26, 0x3fb8aa3b, v18
	v_mul_f32_e32 v27, 0x3fb8aa3b, v19
	;; [unrolled: 1-line block ×4, first 2 shown]
	.loc	1 49 72                         ; softmax_aot.py:49:72
	v_mul_f32_e32 v30, 0x3fb8aa3b, v22
	v_mul_f32_e32 v31, 0x3fb8aa3b, v23
	;; [unrolled: 1-line block ×4, first 2 shown]
	.loc	1 49 52                         ; softmax_aot.py:49:52
	v_cmp_gt_f32_e32 vcc, s28, v26
	v_cmp_gt_f32_e64 s[0:1], s28, v27
	v_cmp_gt_f32_e64 s[8:9], s28, v28
	;; [unrolled: 1-line block ×3, first 2 shown]
	.loc	1 49 72                         ; softmax_aot.py:49:72
	v_cmp_gt_f32_e64 s[12:13], s28, v30
	v_cmp_gt_f32_e64 s[14:15], s28, v31
	v_cmp_gt_f32_e64 s[16:17], s28, v32
	v_cmp_gt_f32_e64 s[18:19], s28, v33
	.loc	1 49 52                         ; softmax_aot.py:49:52
	v_cndmask_b32_e32 v26, 0, v8, vcc
	v_cndmask_b32_e64 v27, 0, v8, s[0:1]
	v_cndmask_b32_e64 v28, 0, v8, s[8:9]
	;; [unrolled: 1-line block ×3, first 2 shown]
	.loc	1 49 72                         ; softmax_aot.py:49:72
	v_cndmask_b32_e64 v30, 0, v8, s[12:13]
	v_cndmask_b32_e64 v31, 0, v8, s[14:15]
	;; [unrolled: 1-line block ×4, first 2 shown]
	.loc	1 49 52                         ; softmax_aot.py:49:52
	v_fmac_f32_e32 v26, 0x3fb8aa3b, v18
	v_fmac_f32_e32 v27, 0x3fb8aa3b, v19
	;; [unrolled: 1-line block ×4, first 2 shown]
	.loc	1 49 72                         ; softmax_aot.py:49:72
	v_fmac_f32_e32 v30, 0x3fb8aa3b, v22
	v_fmac_f32_e32 v31, 0x3fb8aa3b, v23
	;; [unrolled: 1-line block ×4, first 2 shown]
	.loc	1 49 52                         ; softmax_aot.py:49:52
	v_exp_f32_e32 v26, v26
	v_exp_f32_e32 v27, v27
	;; [unrolled: 1-line block ×4, first 2 shown]
	.loc	1 49 72                         ; softmax_aot.py:49:72
	v_exp_f32_e32 v30, v30
	v_exp_f32_e32 v31, v31
	;; [unrolled: 1-line block ×4, first 2 shown]
	.loc	1 49 52                         ; softmax_aot.py:49:52
	v_cndmask_b32_e32 v18, 0, v9, vcc
	v_cndmask_b32_e64 v19, 0, v9, s[0:1]
	v_cndmask_b32_e64 v20, 0, v9, s[8:9]
	;; [unrolled: 1-line block ×3, first 2 shown]
	.loc	1 49 72                         ; softmax_aot.py:49:72
	v_cndmask_b32_e64 v22, 0, v9, s[12:13]
	v_cndmask_b32_e64 v23, 0, v9, s[14:15]
	v_cndmask_b32_e64 v24, 0, v9, s[16:17]
	v_cndmask_b32_e64 v25, 0, v9, s[18:19]
	.loc	1 49 52                         ; softmax_aot.py:49:52
	v_ldexp_f32 v18, v26, v18
	v_ldexp_f32 v19, v27, v19
	;; [unrolled: 1-line block ×4, first 2 shown]
	.loc	1 49 72                         ; softmax_aot.py:49:72
	v_ldexp_f32 v22, v30, v22
	v_ldexp_f32 v23, v31, v23
	;; [unrolled: 1-line block ×4, first 2 shown]
	.loc	1 49 65                         ; softmax_aot.py:49:65
	v_pk_fma_f32 v[18:19], v[6:7], v[18:19], v[22:23]
	.loc	1 48 35 is_stmt 1               ; softmax_aot.py:48:35
	v_cmp_eq_f32_e32 vcc, s29, v15
	.loc	1 49 65                         ; softmax_aot.py:49:65
	v_pk_fma_f32 v[20:21], v[4:5], v[20:21], v[24:25]
	.loc	1 48 35                         ; softmax_aot.py:48:35
	v_cmp_eq_f32_e64 s[0:1], s29, v13
	v_cmp_eq_f32_e64 s[8:9], s29, v1
	;; [unrolled: 1-line block ×3, first 2 shown]
	v_mov_b32_e32 v10, v15
	v_mov_b32_e32 v11, v14
	;; [unrolled: 1-line block ×4, first 2 shown]
	.loc	1 49 41                         ; softmax_aot.py:49:41
	v_cndmask_b32_e64 v7, v19, v7, s[10:11]
	v_cndmask_b32_e32 v6, v18, v6, vcc
	v_cndmask_b32_e64 v5, v21, v5, s[8:9]
	v_cndmask_b32_e64 v4, v20, v4, s[0:1]
	.loc	1 43 51                         ; softmax_aot.py:43:51
	s_cbranch_scc0 .LBB0_2
	s_branch .LBB0_4
.LBB0_3:
	.loc	1 0 51 is_stmt 0                ; softmax_aot.py:0:51
	v_mov_b32_e32 v4, 0
	v_mov_b32_e32 v5, v4
	;; [unrolled: 1-line block ×3, first 2 shown]
	v_mov_b64_e32 v[6:7], v[4:5]
	v_mov_b32_e32 v13, 0xff800000
	v_mov_b32_e32 v14, 0xff800000
	;; [unrolled: 1-line block ×3, first 2 shown]
.LBB0_4:                                ; %.preheader
	.loc	1 39 21 is_stmt 1               ; softmax_aot.py:39:21
	s_lshl_b64 s[12:13], s[22:23], 1
	s_add_u32 s10, s4, s12
	s_addc_u32 s11, s5, s13
	.loc	1 52 51                         ; softmax_aot.py:52:51
	s_cmp_ge_i32 s20, s7
	.loc	1 44 47                         ; softmax_aot.py:44:47
	v_or_b32_e32 v2, s26, v12
	.loc	1 52 51                         ; softmax_aot.py:52:51
	s_cbranch_scc1 .LBB0_16
; %bb.5:                                ; %.lr.ph9.preheader
	.loc	1 0 51 is_stmt 0                ; softmax_aot.py:0:51
	v_mov_b32_e32 v3, 0
	.loc	1 55 26 is_stmt 1               ; softmax_aot.py:55:26
	v_add_u32_e32 v16, s26, v12
	s_mov_b32 s8, 0xc2fc0000
	v_mov_b32_e32 v17, 0x42800000
	v_not_b32_e32 v18, 63
	s_mov_b32 s9, 0xff800000
	s_mov_b32 s4, s20
	s_branch .LBB0_7
.LBB0_6:                                ;   in Loop: Header=BB0_7 Depth=1
	.loc	1 0 26 is_stmt 0                ; softmax_aot.py:0:26
	s_or_b64 exec, exec, s[0:1]
	.loc	1 56 34 is_stmt 1               ; softmax_aot.py:56:34
	s_waitcnt vmcnt(0)
	v_cvt_f32_f16_e32 v22, v9
	v_max_f32_e32 v8, v15, v15
	v_cvt_f32_f16_e32 v19, v19
	v_cvt_f32_f16_e32 v24, v20
	v_max_f32_e32 v8, v8, v22
	.loc	1 58 56                         ; softmax_aot.py:58:56
	v_sub_f32_e32 v15, v15, v8
	.loc	1 58 52 is_stmt 0               ; softmax_aot.py:58:52
	v_mul_f32_e32 v20, 0x3fb8aa3b, v15
	.loc	1 56 34 is_stmt 1               ; softmax_aot.py:56:34
	v_max_f32_e32 v9, v14, v14
	.loc	1 58 52                         ; softmax_aot.py:58:52
	v_cmp_gt_f32_e32 vcc, s8, v20
	.loc	1 56 34                         ; softmax_aot.py:56:34
	v_max_f32_e32 v9, v9, v19
	.loc	1 58 56                         ; softmax_aot.py:58:56
	v_sub_f32_e32 v14, v14, v9
	.loc	1 58 52 is_stmt 0               ; softmax_aot.py:58:52
	v_cndmask_b32_e32 v20, 0, v17, vcc
	v_fmac_f32_e32 v20, 0x3fb8aa3b, v15
	v_exp_f32_e32 v15, v20
	v_mul_f32_e32 v20, 0x3fb8aa3b, v14
	v_cmp_gt_f32_e64 s[0:1], s8, v20
	.loc	1 56 34 is_stmt 1               ; softmax_aot.py:56:34
	v_cvt_f32_f16_e32 v23, v21
	v_max_f32_e32 v10, v13, v13
	.loc	1 58 52                         ; softmax_aot.py:58:52
	v_cndmask_b32_e64 v20, 0, v17, s[0:1]
	v_fmac_f32_e32 v20, 0x3fb8aa3b, v14
	v_exp_f32_e32 v20, v20
	.loc	1 56 34                         ; softmax_aot.py:56:34
	v_max_f32_e32 v10, v10, v23
	.loc	1 58 52                         ; softmax_aot.py:58:52
	v_cndmask_b32_e32 v14, 0, v18, vcc
	.loc	1 58 56 is_stmt 0               ; softmax_aot.py:58:56
	v_sub_f32_e32 v13, v13, v10
	.loc	1 58 52                         ; softmax_aot.py:58:52
	v_ldexp_f32 v14, v15, v14
	v_cndmask_b32_e64 v15, 0, v18, s[0:1]
	v_ldexp_f32 v15, v20, v15
	v_mul_f32_e32 v20, 0x3fb8aa3b, v13
	.loc	1 56 34 is_stmt 1               ; softmax_aot.py:56:34
	v_max_f32_e32 v11, v1, v1
	.loc	1 58 52                         ; softmax_aot.py:58:52
	v_cmp_gt_f32_e32 vcc, s8, v20
	.loc	1 56 34                         ; softmax_aot.py:56:34
	v_max_f32_e32 v11, v11, v24
	.loc	1 58 56                         ; softmax_aot.py:58:56
	v_sub_f32_e32 v1, v1, v11
	.loc	1 58 52 is_stmt 0               ; softmax_aot.py:58:52
	v_cndmask_b32_e32 v20, 0, v17, vcc
	v_fmac_f32_e32 v20, 0x3fb8aa3b, v13
	v_exp_f32_e32 v13, v20
	v_mul_f32_e32 v20, 0x3fb8aa3b, v1
	v_cmp_gt_f32_e64 s[0:1], s8, v20
	.loc	1 58 78                         ; softmax_aot.py:58:78
	v_sub_f32_e32 v24, v24, v11
	.loc	1 52 51 is_stmt 1               ; softmax_aot.py:52:51
	s_addk_i32 s4, 0x800
	.loc	1 58 52                         ; softmax_aot.py:58:52
	v_cndmask_b32_e64 v20, 0, v17, s[0:1]
	v_fmac_f32_e32 v20, 0x3fb8aa3b, v1
	v_exp_f32_e32 v1, v20
	v_cndmask_b32_e32 v20, 0, v18, vcc
	v_ldexp_f32 v20, v13, v20
	v_cndmask_b32_e64 v13, 0, v18, s[0:1]
	v_ldexp_f32 v21, v1, v13
	.loc	1 58 78 is_stmt 0               ; softmax_aot.py:58:78
	v_sub_f32_e32 v1, v22, v8
	.loc	1 58 72                         ; softmax_aot.py:58:72
	v_mul_f32_e32 v22, 0x3fb8aa3b, v1
	v_cmp_gt_f32_e32 vcc, s8, v22
	.loc	1 58 78                         ; softmax_aot.py:58:78
	v_sub_f32_e32 v13, v19, v9
	v_sub_f32_e32 v19, v23, v10
	.loc	1 58 72                         ; softmax_aot.py:58:72
	v_cndmask_b32_e32 v22, 0, v17, vcc
	v_fmac_f32_e32 v22, 0x3fb8aa3b, v1
	v_exp_f32_e32 v1, v22
	v_mul_f32_e32 v22, 0x3fb8aa3b, v13
	v_cmp_gt_f32_e64 s[0:1], s8, v22
	.loc	1 52 51 is_stmt 1               ; softmax_aot.py:52:51
	s_cmp_lt_i32 s4, s7
	.loc	1 58 72                         ; softmax_aot.py:58:72
	s_nop 0
	v_cndmask_b32_e64 v22, 0, v17, s[0:1]
	v_fmac_f32_e32 v22, 0x3fb8aa3b, v13
	v_exp_f32_e32 v13, v22
	v_cndmask_b32_e32 v22, 0, v18, vcc
	v_ldexp_f32 v22, v1, v22
	v_cndmask_b32_e64 v1, 0, v18, s[0:1]
	v_ldexp_f32 v23, v13, v1
	v_mul_f32_e32 v1, 0x3fb8aa3b, v19
	v_cmp_gt_f32_e32 vcc, s8, v1
	v_mul_f32_e32 v13, 0x3fb8aa3b, v24
	v_cmp_gt_f32_e64 s[0:1], s8, v13
	v_cndmask_b32_e32 v1, 0, v17, vcc
	v_fmac_f32_e32 v1, 0x3fb8aa3b, v19
	v_cndmask_b32_e64 v13, 0, v17, s[0:1]
	v_exp_f32_e32 v1, v1
	v_fmac_f32_e32 v13, 0x3fb8aa3b, v24
	v_exp_f32_e32 v13, v13
	v_cndmask_b32_e32 v19, 0, v18, vcc
	v_ldexp_f32 v24, v1, v19
	v_cndmask_b32_e64 v1, 0, v18, s[0:1]
	.loc	1 58 65 is_stmt 0               ; softmax_aot.py:58:65
	v_pk_fma_f32 v[14:15], v[6:7], v[14:15], v[22:23]
	.loc	1 57 35 is_stmt 1               ; softmax_aot.py:57:35
	v_cmp_eq_f32_e32 vcc, s9, v9
	.loc	1 58 72                         ; softmax_aot.py:58:72
	v_ldexp_f32 v25, v13, v1
	.loc	1 58 65 is_stmt 0               ; softmax_aot.py:58:65
	v_pk_fma_f32 v[20:21], v[4:5], v[20:21], v[24:25]
	.loc	1 58 41                         ; softmax_aot.py:58:41
	v_cndmask_b32_e32 v7, v15, v7, vcc
	.loc	1 57 35 is_stmt 1               ; softmax_aot.py:57:35
	v_cmp_eq_f32_e32 vcc, s9, v8
	v_mov_b32_e32 v15, v8
	v_mov_b32_e32 v13, v10
	.loc	1 58 41                         ; softmax_aot.py:58:41
	v_cndmask_b32_e32 v6, v14, v6, vcc
	.loc	1 57 35                         ; softmax_aot.py:57:35
	v_cmp_eq_f32_e32 vcc, s9, v11
	v_mov_b32_e32 v14, v9
	v_mov_b32_e32 v1, v11
	.loc	1 58 41                         ; softmax_aot.py:58:41
	v_cndmask_b32_e32 v5, v21, v5, vcc
	.loc	1 57 35                         ; softmax_aot.py:57:35
	v_cmp_eq_f32_e32 vcc, s9, v10
	.loc	1 58 41                         ; softmax_aot.py:58:41
	s_nop 1
	v_cndmask_b32_e32 v4, v20, v4, vcc
	s_cbranch_scc0 .LBB0_15
.LBB0_7:                                ; %.lr.ph9
                                        ; =>This Inner Loop Header: Depth=1
	.loc	1 53 34                         ; softmax_aot.py:53:34
	v_add_u32_e32 v8, s4, v16
	.loc	1 55 26                         ; softmax_aot.py:55:26
	v_mov_b32_e32 v19, 0xfc00
	.loc	1 54 31                         ; softmax_aot.py:54:31
	v_cmp_gt_i32_e32 vcc, s7, v8
	v_mov_b32_e32 v9, v19
	.loc	1 55 26                         ; softmax_aot.py:55:26
	s_and_saveexec_b64 s[0:1], vcc
	s_cbranch_execz .LBB0_9
; %bb.8:                                ;   in Loop: Header=BB0_7 Depth=1
	.loc	1 0 26 is_stmt 0                ; softmax_aot.py:0:26
	v_ashrrev_i32_e32 v9, 31, v8
	v_lshl_add_u64 v[10:11], v[8:9], 1, s[10:11]
	.loc	1 55 26                         ; softmax_aot.py:55:26
	global_load_ushort v9, v[10:11], off
.LBB0_9:                                ;   in Loop: Header=BB0_7 Depth=1
	.loc	1 0 26                          ; softmax_aot.py:0:26
	s_or_b64 exec, exec, s[0:1]
	.loc	1 53 34 is_stmt 1               ; softmax_aot.py:53:34
	v_add_u32_e32 v10, 0x200, v8
	.loc	1 55 38                         ; softmax_aot.py:55:38
	s_ashr_i32 s5, s4, 31
	.loc	1 54 31                         ; softmax_aot.py:54:31
	v_cmp_gt_i32_e32 vcc, s7, v10
	v_lshl_add_u64 v[10:11], s[4:5], 0, v[2:3]
	.loc	1 55 38                         ; softmax_aot.py:55:38
	v_lshl_add_u64 v[10:11], v[10:11], 1, s[10:11]
	.loc	1 55 26 is_stmt 0               ; softmax_aot.py:55:26
	s_and_saveexec_b64 s[0:1], vcc
	s_cbranch_execz .LBB0_11
; %bb.10:                               ;   in Loop: Header=BB0_7 Depth=1
	global_load_ushort v19, v[10:11], off offset:1024
.LBB0_11:                               ;   in Loop: Header=BB0_7 Depth=1
	.loc	1 0 26                          ; softmax_aot.py:0:26
	s_or_b64 exec, exec, s[0:1]
	.loc	1 53 34 is_stmt 1               ; softmax_aot.py:53:34
	v_add_u32_e32 v20, 0x400, v8
	.loc	1 54 31                         ; softmax_aot.py:54:31
	v_cmp_gt_i32_e32 vcc, s7, v20
	.loc	1 55 26                         ; softmax_aot.py:55:26
	v_mov_b32_e32 v20, 0xfc00
	v_mov_b32_e32 v21, v20
	s_and_saveexec_b64 s[0:1], vcc
	s_cbranch_execz .LBB0_13
; %bb.12:                               ;   in Loop: Header=BB0_7 Depth=1
	global_load_ushort v21, v[10:11], off offset:2048
.LBB0_13:                               ;   in Loop: Header=BB0_7 Depth=1
	.loc	1 0 26 is_stmt 0                ; softmax_aot.py:0:26
	s_or_b64 exec, exec, s[0:1]
	.loc	1 54 31 is_stmt 1               ; softmax_aot.py:54:31
	v_add_u32_e32 v8, 0x600, v8
	v_cmp_gt_i32_e32 vcc, s7, v8
	.loc	1 55 26                         ; softmax_aot.py:55:26
	s_and_saveexec_b64 s[0:1], vcc
	s_cbranch_execz .LBB0_6
; %bb.14:                               ;   in Loop: Header=BB0_7 Depth=1
	global_load_ushort v20, v[10:11], off offset:3072
	s_branch .LBB0_6
.LBB0_15:                               ; %Flow30
	.loc	1 0 26 is_stmt 0                ; softmax_aot.py:0:26
	v_mov_b32_e32 v1, v11
	v_mov_b32_e32 v13, v10
	;; [unrolled: 1-line block ×4, first 2 shown]
.LBB0_16:                               ; %._crit_edge
.Ltmp8:
	.loc	2 170 27 is_stmt 1              ; standard.py:170:27 @[ standard.py:191:40 @[ softmax_aot.py:61:30 ] ]
	v_max_f32_e32 v3, v14, v14
	v_max_f32_e32 v8, v15, v15
	;; [unrolled: 1-line block ×3, first 2 shown]
	v_max3_f32 v3, v3, v13, v1
.Ltmp9:
	.loc	2 191 40                        ; standard.py:191:40 @[ softmax_aot.py:61:30 ]
	s_lshr_b32 s0, s21, 4
	s_and_b32 s0, s0, 28
	v_mov_b32_dpp v8, v3 row_shr:8 row_mask:0xf bank_mask:0xf bound_ctrl:1
.Ltmp10:
	.loc	2 170 27                        ; standard.py:170:27 @[ standard.py:191:40 @[ softmax_aot.py:61:30 ] ]
	v_max_f32_e32 v8, v8, v8
	v_max_f32_e32 v3, v3, v8
.Ltmp11:
	.loc	2 191 40                        ; standard.py:191:40 @[ softmax_aot.py:61:30 ]
	v_cmp_eq_u32_e32 vcc, 0, v12
	s_add_i32 s16, s0, 0
	v_mov_b32_dpp v8, v3 row_shr:4 row_mask:0xf bank_mask:0xf bound_ctrl:1
.Ltmp12:
	.loc	2 170 27                        ; standard.py:170:27 @[ standard.py:191:40 @[ softmax_aot.py:61:30 ] ]
	v_max_f32_e32 v8, v8, v8
	v_max_f32_e32 v3, v3, v8
.Ltmp13:
	.loc	2 191 40                        ; standard.py:191:40 @[ softmax_aot.py:61:30 ]
	s_nop 1
	v_mov_b32_dpp v8, v3 row_shr:2 row_mask:0xf bank_mask:0xf bound_ctrl:1
.Ltmp14:
	.loc	2 170 27                        ; standard.py:170:27 @[ standard.py:191:40 @[ softmax_aot.py:61:30 ] ]
	v_max_f32_e32 v8, v8, v8
	v_max_f32_e32 v3, v3, v8
.Ltmp15:
	.loc	2 191 40                        ; standard.py:191:40 @[ softmax_aot.py:61:30 ]
	s_nop 1
	v_mov_b32_dpp v8, v3 row_shr:1 row_mask:0xf bank_mask:0xf bound_ctrl:1
.Ltmp16:
	.loc	2 170 27                        ; standard.py:170:27 @[ standard.py:191:40 @[ softmax_aot.py:61:30 ] ]
	v_max_f32_e32 v8, v8, v8
	v_max_f32_e32 v3, v3, v8
.Ltmp17:
	.loc	2 191 40                        ; standard.py:191:40 @[ softmax_aot.py:61:30 ]
	v_mov_b32_e32 v8, v3
	s_nop 1
	v_mov_b32_dpp v8, v8 row_bcast:15 row_mask:0xa bank_mask:0xf bound_ctrl:1
.Ltmp18:
	.loc	2 170 27                        ; standard.py:170:27 @[ standard.py:191:40 @[ softmax_aot.py:61:30 ] ]
	v_max_f32_e32 v8, v8, v8
	v_max_f32_e32 v3, v3, v8
.Ltmp19:
	.loc	2 191 40                        ; standard.py:191:40 @[ softmax_aot.py:61:30 ]
	s_nop 1
	v_mov_b32_dpp v8, v3 row_bcast:31 row_mask:0xf bank_mask:0xf bound_ctrl:1
.Ltmp20:
	.loc	2 170 27                        ; standard.py:170:27 @[ standard.py:191:40 @[ softmax_aot.py:61:30 ] ]
	v_max_f32_e32 v8, v8, v8
	v_max_f32_e32 v3, v3, v8
.Ltmp21:
	.loc	2 191 40                        ; standard.py:191:40 @[ softmax_aot.py:61:30 ]
	s_nop 0
	v_readlane_b32 s4, v3, 63
	s_and_saveexec_b64 s[0:1], vcc
; %bb.17:
	v_mov_b32_e32 v3, s16
	v_mov_b32_e32 v8, s4
	ds_write_b32 v3, v8
; %bb.18:
	.loc	2 0 40 is_stmt 0                ; standard.py:0:40
	s_or_b64 exec, exec, s[0:1]
	.loc	2 191 40                        ; standard.py:191:40 @[ softmax_aot.py:61:30 ]
	v_cmp_gt_u32_e64 s[0:1], 8, v0
	v_lshl_add_u32 v3, v0, 2, 0
.Ltmp22:
	.loc	1 61 30 is_stmt 1               ; softmax_aot.py:61:30
	v_mov_b32_e32 v8, 0
.Ltmp23:
	.loc	2 191 40                        ; standard.py:191:40 @[ softmax_aot.py:61:30 ]
	s_waitcnt lgkmcnt(0)
	s_barrier
	s_and_saveexec_b64 s[4:5], s[0:1]
; %bb.19:
	ds_read_b32 v8, v3
; %bb.20:
	.loc	2 0 40 is_stmt 0                ; standard.py:0:40
	s_or_b64 exec, exec, s[4:5]
	.loc	2 191 40                        ; standard.py:191:40 @[ softmax_aot.py:61:30 ]
	s_waitcnt lgkmcnt(0)
	v_mov_b32_e32 v9, v8
	v_and_b32_e32 v0, 7, v0
	v_cmp_eq_u32_e64 s[4:5], 0, v0
	v_mov_b32_dpp v9, v9 row_shr:4 row_mask:0xf bank_mask:0xa
	s_and_b64 s[14:15], s[0:1], s[4:5]
	s_nop 0
	v_mov_b32_dpp v9, v8 row_shl:4 row_mask:0xf bank_mask:0x5
.Ltmp24:
	.loc	2 170 27 is_stmt 1              ; standard.py:170:27 @[ standard.py:191:40 @[ softmax_aot.py:61:30 ] ]
	v_max_f32_e32 v9, v9, v9
	v_max_f32_e32 v8, v8, v8
	;; [unrolled: 1-line block ×3, first 2 shown]
.Ltmp25:
	.loc	2 191 40                        ; standard.py:191:40 @[ softmax_aot.py:61:30 ]
	v_mov_b32_e32 v9, v8
	s_nop 1
	v_mov_b32_dpp v9, v9 quad_perm:[2,3,0,1] row_mask:0xf bank_mask:0xf
.Ltmp26:
	.loc	2 170 27                        ; standard.py:170:27 @[ standard.py:191:40 @[ softmax_aot.py:61:30 ] ]
	v_max_f32_e32 v9, v9, v9
	v_max_f32_e32 v8, v8, v9
.Ltmp27:
	.loc	2 191 40                        ; standard.py:191:40 @[ softmax_aot.py:61:30 ]
	v_mov_b32_e32 v9, v8
	s_nop 1
	v_mov_b32_dpp v9, v9 quad_perm:[1,0,3,2] row_mask:0xf bank_mask:0xf
	s_and_saveexec_b64 s[4:5], s[14:15]
; %bb.21:
	.loc	2 0 40 is_stmt 0                ; standard.py:0:40
	v_max_f32_e32 v0, v9, v9
	v_max_f32_e32 v8, v8, v8
	;; [unrolled: 1-line block ×3, first 2 shown]
	.loc	2 191 40                        ; standard.py:191:40 @[ softmax_aot.py:61:30 ]
	ds_write_b32 v3, v0
; %bb.22:
	.loc	2 0 40                          ; standard.py:0:40
	s_or_b64 exec, exec, s[4:5]
	.loc	2 191 40                        ; standard.py:191:40 @[ softmax_aot.py:61:30 ]
	v_mov_b32_e32 v0, 0
	s_waitcnt lgkmcnt(0)
	s_barrier
	ds_read_b32 v8, v0
	s_mov_b32 s17, 0xc2fc0000
.Ltmp28:
	.loc	2 293 36 is_stmt 1              ; standard.py:293:36 @[ softmax_aot.py:62:46 ]
	s_waitcnt lgkmcnt(0)
	s_barrier
.Ltmp29:
	.loc	1 62 34                         ; softmax_aot.py:62:34
	v_sub_f32_e32 v0, v15, v8
	v_sub_f32_e32 v9, v14, v8
	.loc	1 62 30 is_stmt 0               ; softmax_aot.py:62:30
	v_mul_f32_e32 v11, 0x3fb8aa3b, v0
	.loc	1 62 34                         ; softmax_aot.py:62:34
	v_sub_f32_e32 v10, v13, v8
	.loc	1 62 30                         ; softmax_aot.py:62:30
	v_mov_b32_e32 v13, 0x42800000
	v_cmp_gt_f32_e64 s[4:5], s17, v11
	v_mul_f32_e32 v14, 0x3fb8aa3b, v9
	v_cmp_gt_f32_e64 s[8:9], s17, v14
	v_cndmask_b32_e64 v11, 0, v13, s[4:5]
	v_fmac_f32_e32 v11, 0x3fb8aa3b, v0
	v_cndmask_b32_e64 v14, 0, v13, s[8:9]
	v_exp_f32_e32 v0, v11
	v_fmac_f32_e32 v14, 0x3fb8aa3b, v9
	v_exp_f32_e32 v9, v14
	v_not_b32_e32 v11, 63
	v_cndmask_b32_e64 v14, 0, v11, s[4:5]
	v_ldexp_f32 v0, v0, v14
	v_cndmask_b32_e64 v14, 0, v11, s[8:9]
	v_ldexp_f32 v9, v9, v14
	v_mul_f32_e32 v14, 0x3fb8aa3b, v10
	v_cmp_gt_f32_e64 s[4:5], s17, v14
	.loc	1 62 34                         ; softmax_aot.py:62:34
	v_sub_f32_e32 v1, v1, v8
	.loc	1 62 23                         ; softmax_aot.py:62:23
	v_mul_f32_e32 v7, v7, v9
	.loc	1 62 30                         ; softmax_aot.py:62:30
	v_cndmask_b32_e64 v14, 0, v13, s[4:5]
	v_fmac_f32_e32 v14, 0x3fb8aa3b, v10
	v_exp_f32_e32 v10, v14
	v_mul_f32_e32 v14, 0x3fb8aa3b, v1
	v_cmp_gt_f32_e64 s[8:9], s17, v14
.Ltmp30:
	.loc	2 263 15 is_stmt 1              ; standard.py:263:15 @[ standard.py:293:36 @[ softmax_aot.py:62:46 ] ]
	v_fmac_f32_e32 v7, v6, v0
.Ltmp31:
	.loc	1 62 30                         ; softmax_aot.py:62:30
	s_nop 0
	v_cndmask_b32_e64 v13, 0, v13, s[8:9]
	v_fmac_f32_e32 v13, 0x3fb8aa3b, v1
	v_exp_f32_e32 v1, v13
	v_cndmask_b32_e64 v13, 0, v11, s[4:5]
	v_ldexp_f32 v10, v10, v13
	v_cndmask_b32_e64 v11, 0, v11, s[8:9]
	v_ldexp_f32 v1, v1, v11
.Ltmp32:
	.loc	2 263 15                        ; standard.py:263:15 @[ standard.py:293:36 @[ softmax_aot.py:62:46 ] ]
	v_fmac_f32_e32 v7, v4, v10
	v_fmac_f32_e32 v7, v5, v1
	s_nop 1
	v_add_f32_dpp v0, v7, v7 row_shr:8 row_mask:0xf bank_mask:0xf bound_ctrl:1
	s_nop 1
	v_add_f32_dpp v0, v0, v0 row_shr:4 row_mask:0xf bank_mask:0xf bound_ctrl:1
	;; [unrolled: 2-line block ×4, first 2 shown]
.Ltmp33:
	.loc	2 293 36                        ; standard.py:293:36 @[ softmax_aot.py:62:46 ]
	v_mov_b32_e32 v1, v0
	s_nop 1
	v_mov_b32_dpp v1, v1 row_bcast:15 row_mask:0xa bank_mask:0xf bound_ctrl:1
.Ltmp34:
	.loc	2 263 15                        ; standard.py:263:15 @[ standard.py:293:36 @[ softmax_aot.py:62:46 ] ]
	v_add_f32_e32 v0, v1, v0
	s_nop 1
	v_add_f32_dpp v0, v0, v0 row_bcast:31 row_mask:0xf bank_mask:0xf bound_ctrl:1
.Ltmp35:
	.loc	2 293 36                        ; standard.py:293:36 @[ softmax_aot.py:62:46 ]
	s_nop 0
	v_readlane_b32 s8, v0, 63
	s_and_saveexec_b64 s[4:5], vcc
; %bb.23:
	v_mov_b32_e32 v0, s16
	v_mov_b32_e32 v1, s8
	ds_write_b32 v0, v1
.Ltmp36:
; %bb.24:
	.loc	2 0 36 is_stmt 0                ; standard.py:0:36
	s_or_b64 exec, exec, s[4:5]
	.loc	1 62 46 is_stmt 1               ; softmax_aot.py:62:46
	v_mov_b32_e32 v0, 0
.Ltmp37:
	.loc	2 293 36                        ; standard.py:293:36 @[ softmax_aot.py:62:46 ]
	s_waitcnt lgkmcnt(0)
	s_barrier
	s_and_saveexec_b64 s[4:5], s[0:1]
; %bb.25:
	ds_read_b32 v0, v3
; %bb.26:
	.loc	2 0 36 is_stmt 0                ; standard.py:0:36
	s_or_b64 exec, exec, s[4:5]
	.loc	2 293 36                        ; standard.py:293:36 @[ softmax_aot.py:62:46 ]
	s_waitcnt lgkmcnt(0)
	v_mov_b32_e32 v1, v0
	s_nop 1
	v_mov_b32_dpp v1, v1 row_shr:4 row_mask:0xf bank_mask:0xa
	s_nop 1
	v_mov_b32_dpp v1, v0 row_shl:4 row_mask:0xf bank_mask:0x5
.Ltmp38:
	.loc	2 263 15 is_stmt 1              ; standard.py:263:15 @[ standard.py:293:36 @[ softmax_aot.py:62:46 ] ]
	v_add_f32_e32 v0, v0, v1
.Ltmp39:
	.loc	2 293 36                        ; standard.py:293:36 @[ softmax_aot.py:62:46 ]
	v_mov_b32_e32 v1, v0
	s_nop 1
	v_mov_b32_dpp v1, v1 quad_perm:[2,3,0,1] row_mask:0xf bank_mask:0xf
.Ltmp40:
	.loc	2 263 15                        ; standard.py:263:15 @[ standard.py:293:36 @[ softmax_aot.py:62:46 ] ]
	v_add_f32_e32 v0, v0, v1
.Ltmp41:
	.loc	2 293 36                        ; standard.py:293:36 @[ softmax_aot.py:62:46 ]
	v_mov_b32_e32 v1, v0
	s_nop 1
	v_mov_b32_dpp v1, v1 quad_perm:[1,0,3,2] row_mask:0xf bank_mask:0xf
	s_and_saveexec_b64 s[0:1], s[14:15]
; %bb.27:
	.loc	2 0 36 is_stmt 0                ; standard.py:0:36
	v_add_f32_e32 v0, v0, v1
	.loc	2 293 36                        ; standard.py:293:36 @[ softmax_aot.py:62:46 ]
	ds_write_b32 v3, v0
; %bb.28:
	.loc	2 0 36                          ; standard.py:0:36
	s_or_b64 exec, exec, s[0:1]
	.loc	2 293 36                        ; standard.py:293:36 @[ softmax_aot.py:62:46 ]
	v_mov_b32_e32 v3, 0
	s_waitcnt lgkmcnt(0)
	s_barrier
	ds_read_b32 v9, v3
.Ltmp42:
	.loc	1 68 56 is_stmt 1               ; softmax_aot.py:68:56
	v_or_b32_e32 v0, s20, v2
	.loc	1 71 16                         ; softmax_aot.py:71:16
	v_mov_b32_e32 v11, 0xfc00
	.loc	1 69 31                         ; softmax_aot.py:69:31
	v_cmp_gt_i32_e32 vcc, s7, v0
	v_mov_b32_e32 v1, v11
	.loc	1 71 16                         ; softmax_aot.py:71:16
	s_and_saveexec_b64 s[0:1], vcc
	s_cbranch_execz .LBB0_30
; %bb.29:
	.loc	1 0 16 is_stmt 0                ; softmax_aot.py:0:16
	v_ashrrev_i32_e32 v1, 31, v0
	v_lshl_add_u64 v[4:5], v[0:1], 1, s[10:11]
	.loc	1 71 16                         ; softmax_aot.py:71:16
	global_load_ushort v1, v[4:5], off
.LBB0_30:
	.loc	1 0 16                          ; softmax_aot.py:0:16
	s_or_b64 exec, exec, s[0:1]
	.loc	1 68 56 is_stmt 1               ; softmax_aot.py:68:56
	v_or_b32_e32 v4, 0x200, v0
	.loc	1 71 28                         ; softmax_aot.py:71:28
	s_ashr_i32 s21, s20, 31
	.loc	1 69 31                         ; softmax_aot.py:69:31
	v_cmp_gt_i32_e64 s[8:9], s7, v4
	v_lshl_add_u64 v[4:5], v[2:3], 0, s[20:21]
	.loc	1 71 28                         ; softmax_aot.py:71:28
	v_lshl_add_u64 v[6:7], v[4:5], 1, s[10:11]
	.loc	1 71 16 is_stmt 0               ; softmax_aot.py:71:16
	s_and_saveexec_b64 s[0:1], s[8:9]
	s_cbranch_execz .LBB0_32
; %bb.31:
	global_load_ushort v11, v[6:7], off offset:1024
.LBB0_32:
	.loc	1 0 16                          ; softmax_aot.py:0:16
	s_or_b64 exec, exec, s[0:1]
	.loc	1 68 56 is_stmt 1               ; softmax_aot.py:68:56
	v_or_b32_e32 v10, 0x400, v0
	.loc	1 69 31                         ; softmax_aot.py:69:31
	v_cmp_gt_i32_e64 s[4:5], s7, v10
	.loc	1 71 16                         ; softmax_aot.py:71:16
	v_mov_b32_e32 v10, 0xfc00
	v_mov_b32_e32 v13, v10
	s_and_saveexec_b64 s[0:1], s[4:5]
	s_cbranch_execz .LBB0_34
; %bb.33:
	global_load_ushort v13, v[6:7], off offset:2048
.LBB0_34:
	.loc	1 0 16 is_stmt 0                ; softmax_aot.py:0:16
	s_or_b64 exec, exec, s[0:1]
	.loc	1 68 56 is_stmt 1               ; softmax_aot.py:68:56
	v_or_b32_e32 v14, 0x600, v0
	.loc	1 69 31                         ; softmax_aot.py:69:31
	v_cmp_gt_i32_e64 s[0:1], s7, v14
	.loc	1 71 16                         ; softmax_aot.py:71:16
	s_and_saveexec_b64 s[14:15], s[0:1]
	s_cbranch_execz .LBB0_36
; %bb.35:
	global_load_ushort v10, v[6:7], off offset:3072
.LBB0_36:
	.loc	1 0 16 is_stmt 0                ; softmax_aot.py:0:16
	s_or_b64 exec, exec, s[14:15]
	.loc	1 40 22 is_stmt 1               ; softmax_aot.py:40:22
	s_add_u32 s12, s2, s12
	s_addc_u32 s13, s3, s13
	.loc	1 77 45                         ; softmax_aot.py:77:45
	s_and_saveexec_b64 s[2:3], vcc
	s_cbranch_execnz .LBB0_41
; %bb.37:
	.loc	1 0 45 is_stmt 0                ; softmax_aot.py:0:45
	s_or_b64 exec, exec, s[2:3]
	.loc	1 77 34                         ; softmax_aot.py:77:34
	s_waitcnt vmcnt(0)
	v_lshl_add_u64 v[0:1], v[4:5], 1, s[12:13]
	.loc	1 77 45                         ; softmax_aot.py:77:45
	s_and_saveexec_b64 s[2:3], s[8:9]
	s_cbranch_execnz .LBB0_42
.LBB0_38:
	.loc	1 0 45                          ; softmax_aot.py:0:45
	s_or_b64 exec, exec, s[2:3]
	.loc	1 77 45                         ; softmax_aot.py:77:45
	s_and_saveexec_b64 s[2:3], s[4:5]
	s_cbranch_execnz .LBB0_43
.LBB0_39:
	.loc	1 0 45                          ; softmax_aot.py:0:45
	s_or_b64 exec, exec, s[2:3]
	.loc	1 77 45                         ; softmax_aot.py:77:45
	s_and_saveexec_b64 s[2:3], s[0:1]
	s_cbranch_execnz .LBB0_44
.LBB0_40:
	.loc	1 0 45                          ; softmax_aot.py:0:45
	s_or_b64 exec, exec, s[2:3]
	.loc	1 78 40 is_stmt 1               ; softmax_aot.py:78:40
	s_cmpk_lt_i32 s7, 0x801
	s_cbranch_scc0 .LBB0_45
	s_branch .LBB0_47
.LBB0_41:
	.loc	1 76 29                         ; softmax_aot.py:76:29
	s_waitcnt vmcnt(0)
	v_cvt_f32_f16_e32 v1, v1
	s_mov_b32 s14, 0xc2fc0000
	.loc	1 76 23 is_stmt 0               ; softmax_aot.py:76:23
	v_mov_b32_e32 v6, 0x42800000
	.loc	1 76 29                         ; softmax_aot.py:76:29
	v_sub_f32_e32 v1, v1, v8
	.loc	1 76 23                         ; softmax_aot.py:76:23
	v_mul_f32_e32 v7, 0x3fb8aa3b, v1
	v_cmp_gt_f32_e32 vcc, s14, v7
	s_nop 1
	v_cndmask_b32_e32 v6, 0, v6, vcc
	v_fmac_f32_e32 v6, 0x3fb8aa3b, v1
	v_exp_f32_e32 v1, v6
	v_not_b32_e32 v6, 63
	v_cndmask_b32_e32 v6, 0, v6, vcc
	v_ldexp_f32 v1, v1, v6
	.loc	1 76 34                         ; softmax_aot.py:76:34
	s_waitcnt lgkmcnt(0)
	v_div_scale_f32 v6, s[14:15], v9, v9, v1
	v_rcp_f32_e32 v7, v6
	v_div_scale_f32 v14, vcc, v1, v9, v1
	v_fma_f32 v15, -v6, v7, 1.0
	v_fmac_f32_e32 v7, v15, v7
	v_mul_f32_e32 v15, v14, v7
	v_fma_f32 v16, -v6, v15, v14
	v_fmac_f32_e32 v15, v16, v7
	v_fma_f32 v6, -v6, v15, v14
	v_div_fmas_f32 v6, v6, v7, v15
	v_div_fixup_f32 v1, v6, v9, v1
	v_cvt_f16_f32_e32 v6, v1
	v_ashrrev_i32_e32 v1, 31, v0
	v_lshl_add_u64 v[0:1], v[0:1], 1, s[12:13]
	.loc	1 77 45 is_stmt 1               ; softmax_aot.py:77:45
	global_store_short v[0:1], v6, off
	s_or_b64 exec, exec, s[2:3]
	.loc	1 77 34 is_stmt 0               ; softmax_aot.py:77:34
	v_lshl_add_u64 v[0:1], v[4:5], 1, s[12:13]
	.loc	1 77 45                         ; softmax_aot.py:77:45
	s_and_saveexec_b64 s[2:3], s[8:9]
	s_cbranch_execz .LBB0_38
.LBB0_42:
	.loc	1 76 29 is_stmt 1               ; softmax_aot.py:76:29
	v_cvt_f32_f16_e32 v4, v11
	s_mov_b32 s8, 0xc2fc0000
	.loc	1 76 23 is_stmt 0               ; softmax_aot.py:76:23
	v_mov_b32_e32 v5, 0x42800000
	.loc	1 76 29                         ; softmax_aot.py:76:29
	v_sub_f32_e32 v4, v4, v8
	.loc	1 76 23                         ; softmax_aot.py:76:23
	v_mul_f32_e32 v6, 0x3fb8aa3b, v4
	v_cmp_gt_f32_e32 vcc, s8, v6
	s_nop 1
	v_cndmask_b32_e32 v5, 0, v5, vcc
	v_fmac_f32_e32 v5, 0x3fb8aa3b, v4
	v_exp_f32_e32 v4, v5
	v_not_b32_e32 v5, 63
	v_cndmask_b32_e32 v5, 0, v5, vcc
	v_ldexp_f32 v4, v4, v5
	.loc	1 76 34                         ; softmax_aot.py:76:34
	s_waitcnt lgkmcnt(0)
	v_div_scale_f32 v5, s[8:9], v9, v9, v4
	v_rcp_f32_e32 v6, v5
	v_div_scale_f32 v7, vcc, v4, v9, v4
	v_fma_f32 v11, -v5, v6, 1.0
	v_fmac_f32_e32 v6, v11, v6
	v_mul_f32_e32 v11, v7, v6
	v_fma_f32 v14, -v5, v11, v7
	v_fmac_f32_e32 v11, v14, v6
	v_fma_f32 v5, -v5, v11, v7
	v_div_fmas_f32 v5, v5, v6, v11
	v_div_fixup_f32 v4, v5, v9, v4
	v_cvt_f16_f32_e32 v4, v4
	.loc	1 77 45 is_stmt 1               ; softmax_aot.py:77:45
	global_store_short v[0:1], v4, off offset:1024
	s_or_b64 exec, exec, s[2:3]
	s_and_saveexec_b64 s[2:3], s[4:5]
	s_cbranch_execz .LBB0_39
.LBB0_43:
	.loc	1 76 29                         ; softmax_aot.py:76:29
	v_cvt_f32_f16_e32 v4, v13
	s_mov_b32 s4, 0xc2fc0000
	.loc	1 76 23 is_stmt 0               ; softmax_aot.py:76:23
	v_mov_b32_e32 v5, 0x42800000
	.loc	1 76 29                         ; softmax_aot.py:76:29
	v_sub_f32_e32 v4, v4, v8
	.loc	1 76 23                         ; softmax_aot.py:76:23
	v_mul_f32_e32 v6, 0x3fb8aa3b, v4
	v_cmp_gt_f32_e32 vcc, s4, v6
	s_nop 1
	v_cndmask_b32_e32 v5, 0, v5, vcc
	v_fmac_f32_e32 v5, 0x3fb8aa3b, v4
	v_exp_f32_e32 v4, v5
	v_not_b32_e32 v5, 63
	v_cndmask_b32_e32 v5, 0, v5, vcc
	v_ldexp_f32 v4, v4, v5
	.loc	1 76 34                         ; softmax_aot.py:76:34
	s_waitcnt lgkmcnt(0)
	v_div_scale_f32 v5, s[4:5], v9, v9, v4
	v_rcp_f32_e32 v6, v5
	v_div_scale_f32 v7, vcc, v4, v9, v4
	v_fma_f32 v11, -v5, v6, 1.0
	v_fmac_f32_e32 v6, v11, v6
	v_mul_f32_e32 v11, v7, v6
	v_fma_f32 v13, -v5, v11, v7
	v_fmac_f32_e32 v11, v13, v6
	v_fma_f32 v5, -v5, v11, v7
	v_div_fmas_f32 v5, v5, v6, v11
	v_div_fixup_f32 v4, v5, v9, v4
	v_cvt_f16_f32_e32 v4, v4
	.loc	1 77 45 is_stmt 1               ; softmax_aot.py:77:45
	global_store_short v[0:1], v4, off offset:2048
	s_or_b64 exec, exec, s[2:3]
	s_and_saveexec_b64 s[2:3], s[0:1]
	s_cbranch_execz .LBB0_40
.LBB0_44:
	.loc	1 76 29                         ; softmax_aot.py:76:29
	v_cvt_f32_f16_e32 v4, v10
	s_mov_b32 s0, 0xc2fc0000
	.loc	1 76 23 is_stmt 0               ; softmax_aot.py:76:23
	v_mov_b32_e32 v5, 0x42800000
	.loc	1 76 29                         ; softmax_aot.py:76:29
	v_sub_f32_e32 v4, v4, v8
	.loc	1 76 23                         ; softmax_aot.py:76:23
	v_mul_f32_e32 v6, 0x3fb8aa3b, v4
	v_cmp_gt_f32_e32 vcc, s0, v6
	s_nop 1
	v_cndmask_b32_e32 v5, 0, v5, vcc
	v_fmac_f32_e32 v5, 0x3fb8aa3b, v4
	v_exp_f32_e32 v4, v5
	v_not_b32_e32 v5, 63
	v_cndmask_b32_e32 v5, 0, v5, vcc
	v_ldexp_f32 v4, v4, v5
	.loc	1 76 34                         ; softmax_aot.py:76:34
	s_waitcnt lgkmcnt(0)
	v_div_scale_f32 v5, s[0:1], v9, v9, v4
	v_rcp_f32_e32 v6, v5
	v_div_scale_f32 v7, vcc, v4, v9, v4
	v_fma_f32 v10, -v5, v6, 1.0
	v_fmac_f32_e32 v6, v10, v6
	v_mul_f32_e32 v10, v7, v6
	v_fma_f32 v11, -v5, v10, v7
	v_fmac_f32_e32 v10, v11, v6
	v_fma_f32 v5, -v5, v10, v7
	v_div_fmas_f32 v5, v5, v6, v10
	v_div_fixup_f32 v4, v5, v9, v4
	v_cvt_f16_f32_e32 v4, v4
	.loc	1 77 45 is_stmt 1               ; softmax_aot.py:77:45
	global_store_short v[0:1], v4, off offset:3072
	s_or_b64 exec, exec, s[2:3]
	.loc	1 78 40                         ; softmax_aot.py:78:40
	s_cmpk_lt_i32 s7, 0x801
	s_cbranch_scc1 .LBB0_47
.LBB0_45:                               ; %.lr.ph13.preheader
	s_add_i32 s8, s6, 0xfffff000
	v_add_u32_e32 v0, s26, v12
	s_movk_i32 s6, 0x800
	s_mov_b32 s14, 0xc2fc0000
	v_mov_b32_e32 v1, 0x42800000
	v_not_b32_e32 v4, 63
.LBB0_46:                               ; %.lr.ph13
                                        ; =>This Inner Loop Header: Depth=1
	.loc	1 80 38                         ; softmax_aot.py:80:38
	v_add_u32_e32 v6, s8, v0
	s_ashr_i32 s9, s8, 31
	v_ashrrev_i32_e32 v7, 31, v6
	v_lshl_add_u64 v[10:11], s[8:9], 0, v[2:3]
	v_lshlrev_b64 v[6:7], 1, v[6:7]
	v_lshlrev_b64 v[10:11], 1, v[10:11]
	v_lshl_add_u64 v[12:13], s[10:11], 0, v[6:7]
	v_lshl_add_u64 v[14:15], s[10:11], 0, v[10:11]
	.loc	1 80 26 is_stmt 0               ; softmax_aot.py:80:26
	global_load_ushort v5, v[12:13], off
	global_load_ushort v16, v[14:15], off offset:1024
	global_load_ushort v17, v[14:15], off offset:2048
	;; [unrolled: 1-line block ×3, first 2 shown]
	.loc	1 78 40 is_stmt 1               ; softmax_aot.py:78:40
	s_addk_i32 s6, 0x800
	s_addk_i32 s8, 0xf800
	s_cmp_lt_i32 s6, s7
	.loc	1 82 34                         ; softmax_aot.py:82:34
	v_lshl_add_u64 v[6:7], s[12:13], 0, v[6:7]
	v_lshl_add_u64 v[10:11], s[12:13], 0, v[10:11]
	.loc	1 81 29                         ; softmax_aot.py:81:29
	s_waitcnt vmcnt(3)
	v_cvt_f32_f16_e32 v5, v5
	s_waitcnt vmcnt(2)
	v_cvt_f32_f16_e32 v12, v16
	;; [unrolled: 2-line block ×4, first 2 shown]
	v_sub_f32_e32 v5, v5, v8
	v_sub_f32_e32 v12, v12, v8
	.loc	1 81 23 is_stmt 0               ; softmax_aot.py:81:23
	v_mul_f32_e32 v15, 0x3fb8aa3b, v5
	.loc	1 81 29                         ; softmax_aot.py:81:29
	v_sub_f32_e32 v13, v13, v8
	.loc	1 81 23                         ; softmax_aot.py:81:23
	v_mul_f32_e32 v16, 0x3fb8aa3b, v12
	v_cmp_gt_f32_e32 vcc, s14, v15
	.loc	1 81 29                         ; softmax_aot.py:81:29
	v_sub_f32_e32 v14, v14, v8
	.loc	1 81 23                         ; softmax_aot.py:81:23
	v_mul_f32_e32 v17, 0x3fb8aa3b, v13
	v_cndmask_b32_e32 v15, 0, v1, vcc
	v_cmp_gt_f32_e64 s[0:1], s14, v16
	v_mul_f32_e32 v18, 0x3fb8aa3b, v14
	v_cmp_gt_f32_e64 s[2:3], s14, v17
	v_cndmask_b32_e64 v16, 0, v1, s[0:1]
	v_fmac_f32_e32 v15, 0x3fb8aa3b, v5
	v_cndmask_b32_e64 v17, 0, v1, s[2:3]
	v_cmp_gt_f32_e64 s[4:5], s14, v18
	v_fmac_f32_e32 v16, 0x3fb8aa3b, v12
	v_exp_f32_e32 v15, v15
	v_cndmask_b32_e64 v18, 0, v1, s[4:5]
	v_fmac_f32_e32 v17, 0x3fb8aa3b, v13
	v_exp_f32_e32 v16, v16
	v_fmac_f32_e32 v18, 0x3fb8aa3b, v14
	v_exp_f32_e32 v17, v17
	v_cndmask_b32_e32 v5, 0, v4, vcc
	v_exp_f32_e32 v18, v18
	v_cndmask_b32_e64 v12, 0, v4, s[0:1]
	v_ldexp_f32 v5, v15, v5
	v_cndmask_b32_e64 v13, 0, v4, s[2:3]
	v_ldexp_f32 v12, v16, v12
	.loc	1 81 34                         ; softmax_aot.py:81:34
	s_waitcnt lgkmcnt(0)
	v_div_scale_f32 v15, s[0:1], v9, v9, v5
	.loc	1 81 23                         ; softmax_aot.py:81:23
	v_cndmask_b32_e64 v14, 0, v4, s[4:5]
	v_ldexp_f32 v13, v17, v13
	.loc	1 81 34                         ; softmax_aot.py:81:34
	v_div_scale_f32 v17, s[0:1], v9, v9, v12
	v_rcp_f32_e32 v23, v15
	.loc	1 81 23                         ; softmax_aot.py:81:23
	v_ldexp_f32 v14, v18, v14
	.loc	1 81 34                         ; softmax_aot.py:81:34
	v_div_scale_f32 v19, s[2:3], v9, v9, v13
	v_rcp_f32_e32 v24, v17
	v_div_scale_f32 v21, s[4:5], v9, v9, v14
	v_rcp_f32_e32 v25, v19
	v_rcp_f32_e32 v26, v21
	v_fma_f32 v27, -v15, v23, 1.0
	v_div_scale_f32 v16, vcc, v5, v9, v5
	v_fma_f32 v28, -v17, v24, 1.0
	v_fmac_f32_e32 v23, v27, v23
	v_div_scale_f32 v18, s[0:1], v12, v9, v12
	v_fma_f32 v29, -v19, v25, 1.0
	v_fmac_f32_e32 v24, v28, v24
	v_mul_f32_e32 v27, v16, v23
	v_div_scale_f32 v20, s[2:3], v13, v9, v13
	v_fma_f32 v30, -v21, v26, 1.0
	v_fmac_f32_e32 v25, v29, v25
	v_mul_f32_e32 v28, v18, v24
	v_fma_f32 v31, -v15, v27, v16
	v_div_scale_f32 v22, s[4:5], v14, v9, v14
	v_fmac_f32_e32 v26, v30, v26
	v_mul_f32_e32 v29, v20, v25
	v_fma_f32 v32, -v17, v28, v18
	v_fmac_f32_e32 v27, v31, v23
	v_mul_f32_e32 v30, v22, v26
	v_fma_f32 v33, -v19, v29, v20
	v_fmac_f32_e32 v28, v32, v24
	v_fma_f32 v15, -v15, v27, v16
	v_fma_f32 v34, -v21, v30, v22
	v_fmac_f32_e32 v29, v33, v25
	v_fma_f32 v16, -v17, v28, v18
	v_div_fmas_f32 v15, v15, v23, v27
	s_mov_b64 vcc, s[0:1]
	v_fmac_f32_e32 v30, v34, v26
	v_fma_f32 v17, -v19, v29, v20
	v_div_fixup_f32 v5, v15, v9, v5
	v_div_fmas_f32 v15, v16, v24, v28
	s_mov_b64 vcc, s[2:3]
	v_fma_f32 v18, -v21, v30, v22
	v_div_fixup_f32 v12, v15, v9, v12
	v_div_fmas_f32 v15, v17, v25, v29
	.loc	1 82 45 is_stmt 1               ; softmax_aot.py:82:45
	v_cvt_f16_f32_e32 v5, v5
	.loc	1 81 34                         ; softmax_aot.py:81:34
	s_mov_b64 vcc, s[4:5]
	v_div_fixup_f32 v13, v15, v9, v13
	v_div_fmas_f32 v15, v18, v26, v30
	.loc	1 82 45                         ; softmax_aot.py:82:45
	v_cvt_f16_f32_e32 v12, v12
	.loc	1 81 34                         ; softmax_aot.py:81:34
	v_div_fixup_f32 v14, v15, v9, v14
	.loc	1 82 45                         ; softmax_aot.py:82:45
	v_cvt_f16_f32_e32 v13, v13
	v_cvt_f16_f32_e32 v14, v14
	global_store_short v[6:7], v5, off
	global_store_short v[10:11], v12, off offset:1024
	global_store_short v[10:11], v13, off offset:2048
	;; [unrolled: 1-line block ×3, first 2 shown]
	s_cbranch_scc1 .LBB0_46
.LBB0_47:                               ; %._crit_edge14
	.loc	1 22 4                          ; softmax_aot.py:22:4
	s_endpgm
.Ltmp43:
	.section	.rodata,"a",@progbits
	.p2align	6, 0x0
	.amdhsa_kernel softmax_kernel_inner
		.amdhsa_group_segment_fixed_size 0
		.amdhsa_private_segment_fixed_size 0
		.amdhsa_kernarg_size 40
		.amdhsa_user_sgpr_count 12
		.amdhsa_user_sgpr_dispatch_ptr 0
		.amdhsa_user_sgpr_queue_ptr 0
		.amdhsa_user_sgpr_kernarg_segment_ptr 1
		.amdhsa_user_sgpr_dispatch_id 0
		.amdhsa_user_sgpr_kernarg_preload_length 10
		.amdhsa_user_sgpr_kernarg_preload_offset 0
		.amdhsa_user_sgpr_private_segment_size 0
		.amdhsa_uses_dynamic_stack 0
		.amdhsa_enable_private_segment 0
		.amdhsa_system_sgpr_workgroup_id_x 1
		.amdhsa_system_sgpr_workgroup_id_y 0
		.amdhsa_system_sgpr_workgroup_id_z 0
		.amdhsa_system_sgpr_workgroup_info 0
		.amdhsa_system_vgpr_workitem_id 0
		.amdhsa_next_free_vgpr 35
		.amdhsa_next_free_sgpr 30
		.amdhsa_accum_offset 36
		.amdhsa_reserve_vcc 1
		.amdhsa_reserve_xnack_mask 1
		.amdhsa_float_round_mode_32 0
		.amdhsa_float_round_mode_16_64 0
		.amdhsa_float_denorm_mode_32 3
		.amdhsa_float_denorm_mode_16_64 3
		.amdhsa_dx10_clamp 1
		.amdhsa_ieee_mode 1
		.amdhsa_fp16_overflow 0
		.amdhsa_tg_split 0
		.amdhsa_exception_fp_ieee_invalid_op 0
		.amdhsa_exception_fp_denorm_src 0
		.amdhsa_exception_fp_ieee_div_zero 0
		.amdhsa_exception_fp_ieee_overflow 0
		.amdhsa_exception_fp_ieee_underflow 0
		.amdhsa_exception_fp_ieee_inexact 0
		.amdhsa_exception_int_div_zero 0
	.end_amdhsa_kernel
	.text
.Lfunc_end0:
	.size	softmax_kernel_inner, .Lfunc_end0-softmax_kernel_inner
	.cfi_endproc
                                        ; -- End function
	.set softmax_kernel_inner.num_vgpr, 35
	.set softmax_kernel_inner.num_agpr, 0
	.set softmax_kernel_inner.numbered_sgpr, 30
	.set softmax_kernel_inner.num_named_barrier, 0
	.set softmax_kernel_inner.private_seg_size, 0
	.set softmax_kernel_inner.uses_vcc, 1
	.set softmax_kernel_inner.uses_flat_scratch, 0
	.set softmax_kernel_inner.has_dyn_sized_stack, 0
	.set softmax_kernel_inner.has_recursion, 0
	.set softmax_kernel_inner.has_indirect_call, 0
	.section	.AMDGPU.csdata,"",@progbits
; Kernel info:
; codeLenInByte = 4592
; TotalNumSgprs: 36
; NumVgprs: 35
; NumAgprs: 0
; TotalNumVgprs: 35
; ScratchSize: 0
; MemoryBound: 0
; FloatMode: 240
; IeeeMode: 1
; LDSByteSize: 0 bytes/workgroup (compile time only)
; SGPRBlocks: 4
; VGPRBlocks: 4
; NumSGPRsForWavesPerEU: 36
; NumVGPRsForWavesPerEU: 35
; AccumOffset: 36
; Occupancy: 8
; WaveLimiterHint : 1
; COMPUTE_PGM_RSRC2:SCRATCH_EN: 0
; COMPUTE_PGM_RSRC2:USER_SGPR: 12
; COMPUTE_PGM_RSRC2:TRAP_HANDLER: 0
; COMPUTE_PGM_RSRC2:TGID_X_EN: 1
; COMPUTE_PGM_RSRC2:TGID_Y_EN: 0
; COMPUTE_PGM_RSRC2:TGID_Z_EN: 0
; COMPUTE_PGM_RSRC2:TIDIG_COMP_CNT: 0
; COMPUTE_PGM_RSRC3_GFX90A:ACCUM_OFFSET: 8
; COMPUTE_PGM_RSRC3_GFX90A:TG_SPLIT: 0
	.text
	.p2alignl 6, 3212836864
	.fill 256, 4, 3212836864
	.section	.AMDGPU.gpr_maximums,"",@progbits
	.set amdgpu.max_num_vgpr, 0
	.set amdgpu.max_num_agpr, 0
	.set amdgpu.max_num_sgpr, 0
	.set amdgpu.max_num_named_barrier, 0
	.text
	.section	.debug_abbrev,"",@progbits
	.byte	1                               ; Abbreviation Code
	.byte	17                              ; DW_TAG_compile_unit
	.byte	1                               ; DW_CHILDREN_yes
	.byte	37                              ; DW_AT_producer
	.byte	14                              ; DW_FORM_strp
	.byte	19                              ; DW_AT_language
	.byte	5                               ; DW_FORM_data2
	.byte	3                               ; DW_AT_name
	.byte	14                              ; DW_FORM_strp
	.byte	16                              ; DW_AT_stmt_list
	.byte	23                              ; DW_FORM_sec_offset
	.byte	27                              ; DW_AT_comp_dir
	.byte	14                              ; DW_FORM_strp
	.byte	17                              ; DW_AT_low_pc
	.byte	1                               ; DW_FORM_addr
	.byte	18                              ; DW_AT_high_pc
	.byte	6                               ; DW_FORM_data4
	.byte	0                               ; EOM(1)
	.byte	0                               ; EOM(2)
	.byte	2                               ; Abbreviation Code
	.byte	46                              ; DW_TAG_subprogram
	.byte	0                               ; DW_CHILDREN_no
	.byte	3                               ; DW_AT_name
	.byte	14                              ; DW_FORM_strp
	.byte	32                              ; DW_AT_inline
	.byte	11                              ; DW_FORM_data1
	.byte	0                               ; EOM(1)
	.byte	0                               ; EOM(2)
	.byte	3                               ; Abbreviation Code
	.byte	46                              ; DW_TAG_subprogram
	.byte	1                               ; DW_CHILDREN_yes
	.byte	17                              ; DW_AT_low_pc
	.byte	1                               ; DW_FORM_addr
	.byte	18                              ; DW_AT_high_pc
	.byte	6                               ; DW_FORM_data4
	.byte	49                              ; DW_AT_abstract_origin
	.byte	19                              ; DW_FORM_ref4
	.byte	0                               ; EOM(1)
	.byte	0                               ; EOM(2)
	.byte	4                               ; Abbreviation Code
	.byte	29                              ; DW_TAG_inlined_subroutine
	.byte	1                               ; DW_CHILDREN_yes
	.byte	49                              ; DW_AT_abstract_origin
	.byte	19                              ; DW_FORM_ref4
	.byte	85                              ; DW_AT_ranges
	.byte	23                              ; DW_FORM_sec_offset
	.byte	88                              ; DW_AT_call_file
	.byte	11                              ; DW_FORM_data1
	.byte	89                              ; DW_AT_call_line
	.byte	11                              ; DW_FORM_data1
	.byte	87                              ; DW_AT_call_column
	.byte	11                              ; DW_FORM_data1
	.byte	0                               ; EOM(1)
	.byte	0                               ; EOM(2)
	.byte	5                               ; Abbreviation Code
	.byte	29                              ; DW_TAG_inlined_subroutine
	.byte	0                               ; DW_CHILDREN_no
	.byte	49                              ; DW_AT_abstract_origin
	.byte	19                              ; DW_FORM_ref4
	.byte	17                              ; DW_AT_low_pc
	.byte	1                               ; DW_FORM_addr
	.byte	18                              ; DW_AT_high_pc
	.byte	6                               ; DW_FORM_data4
	.byte	88                              ; DW_AT_call_file
	.byte	11                              ; DW_FORM_data1
	.byte	89                              ; DW_AT_call_line
	.byte	11                              ; DW_FORM_data1
	.byte	87                              ; DW_AT_call_column
	.byte	11                              ; DW_FORM_data1
	.byte	0                               ; EOM(1)
	.byte	0                               ; EOM(2)
	.byte	6                               ; Abbreviation Code
	.byte	29                              ; DW_TAG_inlined_subroutine
	.byte	0                               ; DW_CHILDREN_no
	.byte	49                              ; DW_AT_abstract_origin
	.byte	19                              ; DW_FORM_ref4
	.byte	85                              ; DW_AT_ranges
	.byte	23                              ; DW_FORM_sec_offset
	.byte	88                              ; DW_AT_call_file
	.byte	11                              ; DW_FORM_data1
	.byte	89                              ; DW_AT_call_line
	.byte	5                               ; DW_FORM_data2
	.byte	87                              ; DW_AT_call_column
	.byte	11                              ; DW_FORM_data1
	.byte	0                               ; EOM(1)
	.byte	0                               ; EOM(2)
	.byte	7                               ; Abbreviation Code
	.byte	29                              ; DW_TAG_inlined_subroutine
	.byte	0                               ; DW_CHILDREN_no
	.byte	49                              ; DW_AT_abstract_origin
	.byte	19                              ; DW_FORM_ref4
	.byte	85                              ; DW_AT_ranges
	.byte	23                              ; DW_FORM_sec_offset
	.byte	88                              ; DW_AT_call_file
	.byte	11                              ; DW_FORM_data1
	.byte	89                              ; DW_AT_call_line
	.byte	11                              ; DW_FORM_data1
	.byte	87                              ; DW_AT_call_column
	.byte	11                              ; DW_FORM_data1
	.byte	0                               ; EOM(1)
	.byte	0                               ; EOM(2)
	;; [unrolled: 1-line block ×3, first 2 shown]
	.section	.debug_info,"",@progbits
.Lcu_begin0:
	.long	.Ldebug_info_end0-.Ldebug_info_start0 ; Length of Unit
.Ldebug_info_start0:
	.short	4                               ; DWARF version number
	.long	.debug_abbrev                   ; Offset Into Abbrev. Section
	.byte	8                               ; Address Size (in bytes)
	.byte	1                               ; Abbrev [1] 0xb:0x8c DW_TAG_compile_unit
	.long	.Linfo_string0                  ; DW_AT_producer
	.short	2                               ; DW_AT_language
	.long	.Linfo_string1                  ; DW_AT_name
	.long	.Lline_table_start0             ; DW_AT_stmt_list
	.long	.Linfo_string2                  ; DW_AT_comp_dir
	.quad	.Lfunc_begin0                   ; DW_AT_low_pc
	.long	.Lfunc_end0-.Lfunc_begin0       ; DW_AT_high_pc
	.byte	2                               ; Abbrev [2] 0x2a:0x6 DW_TAG_subprogram
	.long	.Linfo_string3                  ; DW_AT_name
	.byte	1                               ; DW_AT_inline
	.byte	3                               ; Abbrev [3] 0x30:0x66 DW_TAG_subprogram
	.quad	.Lfunc_begin0                   ; DW_AT_low_pc
	.long	.Lfunc_end0-.Lfunc_begin0       ; DW_AT_high_pc
	.long	42                              ; DW_AT_abstract_origin
	.byte	4                               ; Abbrev [4] 0x41:0x21 DW_TAG_inlined_subroutine
	.long	42                              ; DW_AT_abstract_origin
	.long	.Ldebug_ranges0                 ; DW_AT_ranges
	.byte	1                               ; DW_AT_call_file
	.byte	42                              ; DW_AT_call_line
	.byte	48                              ; DW_AT_call_column
	.byte	5                               ; Abbrev [5] 0x4d:0x14 DW_TAG_inlined_subroutine
	.long	42                              ; DW_AT_abstract_origin
	.quad	.Ltmp1                          ; DW_AT_low_pc
	.long	.Ltmp2-.Ltmp1                   ; DW_AT_high_pc
	.byte	1                               ; DW_AT_call_file
	.byte	10                              ; DW_AT_call_line
	.byte	22                              ; DW_AT_call_column
	.byte	0                               ; End Of Children Mark
	.byte	4                               ; Abbrev [4] 0x62:0x1a DW_TAG_inlined_subroutine
	.long	42                              ; DW_AT_abstract_origin
	.long	.Ldebug_ranges1                 ; DW_AT_ranges
	.byte	1                               ; DW_AT_call_file
	.byte	62                              ; DW_AT_call_line
	.byte	46                              ; DW_AT_call_column
	.byte	6                               ; Abbrev [6] 0x6e:0xd DW_TAG_inlined_subroutine
	.long	42                              ; DW_AT_abstract_origin
	.long	.Ldebug_ranges2                 ; DW_AT_ranges
	.byte	2                               ; DW_AT_call_file
	.short	293                             ; DW_AT_call_line
	.byte	36                              ; DW_AT_call_column
	.byte	0                               ; End Of Children Mark
	.byte	4                               ; Abbrev [4] 0x7c:0x19 DW_TAG_inlined_subroutine
	.long	42                              ; DW_AT_abstract_origin
	.long	.Ldebug_ranges3                 ; DW_AT_ranges
	.byte	1                               ; DW_AT_call_file
	.byte	61                              ; DW_AT_call_line
	.byte	30                              ; DW_AT_call_column
	.byte	7                               ; Abbrev [7] 0x88:0xc DW_TAG_inlined_subroutine
	.long	42                              ; DW_AT_abstract_origin
	.long	.Ldebug_ranges4                 ; DW_AT_ranges
	.byte	2                               ; DW_AT_call_file
	.byte	191                             ; DW_AT_call_line
	.byte	40                              ; DW_AT_call_column
	.byte	0                               ; End Of Children Mark
	.byte	0                               ; End Of Children Mark
	;; [unrolled: 1-line block ×3, first 2 shown]
.Ldebug_info_end0:
	.section	.debug_ranges,"",@progbits
.Ldebug_ranges0:
	.quad	.Ltmp1-.Lfunc_begin0
	.quad	.Ltmp2-.Lfunc_begin0
	;; [unrolled: 1-line block ×6, first 2 shown]
	.quad	0
	.quad	0
.Ldebug_ranges1:
	.quad	.Ltmp2-.Lfunc_begin0
	.quad	.Ltmp3-.Lfunc_begin0
	;; [unrolled: 1-line block ×10, first 2 shown]
	.quad	0
	.quad	0
.Ldebug_ranges2:
	.quad	.Ltmp30-.Lfunc_begin0
	.quad	.Ltmp31-.Lfunc_begin0
	;; [unrolled: 1-line block ×10, first 2 shown]
	.quad	0
	.quad	0
.Ldebug_ranges3:
	.quad	.Ltmp8-.Lfunc_begin0
	.quad	.Ltmp22-.Lfunc_begin0
	;; [unrolled: 1-line block ×4, first 2 shown]
	.quad	0
	.quad	0
.Ldebug_ranges4:
	.quad	.Ltmp8-.Lfunc_begin0
	.quad	.Ltmp9-.Lfunc_begin0
	.quad	.Ltmp10-.Lfunc_begin0
	.quad	.Ltmp11-.Lfunc_begin0
	.quad	.Ltmp12-.Lfunc_begin0
	.quad	.Ltmp13-.Lfunc_begin0
	.quad	.Ltmp14-.Lfunc_begin0
	.quad	.Ltmp15-.Lfunc_begin0
	.quad	.Ltmp16-.Lfunc_begin0
	.quad	.Ltmp17-.Lfunc_begin0
	.quad	.Ltmp18-.Lfunc_begin0
	.quad	.Ltmp19-.Lfunc_begin0
	.quad	.Ltmp20-.Lfunc_begin0
	.quad	.Ltmp21-.Lfunc_begin0
	.quad	.Ltmp24-.Lfunc_begin0
	.quad	.Ltmp25-.Lfunc_begin0
	.quad	.Ltmp26-.Lfunc_begin0
	.quad	.Ltmp27-.Lfunc_begin0
	.quad	0
	.quad	0
	.section	.debug_str,"MS",@progbits,1
.Linfo_string0:
	.asciz	"triton"                        ; string offset=0
.Linfo_string1:
	.asciz	"softmax_aot.py"                ; string offset=7
.Linfo_string2:
	.asciz	"/root/src/amdgpu-assembly/repos/FlagOpen__FlagGems/triton_aot_kernels" ; string offset=22
.Linfo_string3:
	.asciz	"softmax_kernel_inner"          ; string offset=92
	.section	".note.GNU-stack","",@progbits
	.amdgpu_metadata
---
amdhsa.kernels:
  - .agpr_count:     0
    .args:
      - .address_space:  global
        .offset:         0
        .size:           8
        .value_kind:     global_buffer
      - .address_space:  global
        .offset:         8
        .size:           8
        .value_kind:     global_buffer
      - .offset:         16
        .size:           4
        .value_kind:     by_value
      - .offset:         20
        .size:           4
        .value_kind:     by_value
      - .address_space:  global
        .offset:         24
        .size:           8
        .value_kind:     global_buffer
      - .address_space:  global
        .offset:         32
        .size:           8
        .value_kind:     global_buffer
    .group_segment_fixed_size: 0
    .kernarg_segment_align: 8
    .kernarg_segment_size: 40
    .max_flat_workgroup_size: 512
    .name:           softmax_kernel_inner
    .private_segment_fixed_size: 0
    .sgpr_count:     36
    .sgpr_spill_count: 0
    .symbol:         softmax_kernel_inner.kd
    .uniform_work_group_size: 1
    .uses_dynamic_stack: false
    .vgpr_count:     35
    .vgpr_spill_count: 0
    .wavefront_size: 64
amdhsa.target:   amdgcn-amd-amdhsa--gfx950
amdhsa.version:
  - 1
  - 2
...

	.end_amdgpu_metadata
	.section	.debug_line,"",@progbits
.Lline_table_start0:
